;; amdgpu-corpus repo=ROCm/rocFFT kind=compiled arch=gfx950 opt=O3
	.text
	.amdgcn_target "amdgcn-amd-amdhsa--gfx950"
	.amdhsa_code_object_version 6
	.protected	fft_rtc_back_len121_factors_11_11_wgs_121_tpt_11_half_op_CI_CI_sbrc_erc_z_xy_unaligned_dirReg ; -- Begin function fft_rtc_back_len121_factors_11_11_wgs_121_tpt_11_half_op_CI_CI_sbrc_erc_z_xy_unaligned_dirReg
	.globl	fft_rtc_back_len121_factors_11_11_wgs_121_tpt_11_half_op_CI_CI_sbrc_erc_z_xy_unaligned_dirReg
	.p2align	8
	.type	fft_rtc_back_len121_factors_11_11_wgs_121_tpt_11_half_op_CI_CI_sbrc_erc_z_xy_unaligned_dirReg,@function
fft_rtc_back_len121_factors_11_11_wgs_121_tpt_11_half_op_CI_CI_sbrc_erc_z_xy_unaligned_dirReg: ; @fft_rtc_back_len121_factors_11_11_wgs_121_tpt_11_half_op_CI_CI_sbrc_erc_z_xy_unaligned_dirReg
; %bb.0:
	s_load_dwordx8 s[4:11], s[0:1], 0x0
	s_waitcnt lgkmcnt(0)
	s_load_dwordx4 s[12:15], s[8:9], 0x8
	s_waitcnt lgkmcnt(0)
	s_add_i32 s3, s12, -1
	s_mul_hi_u32 s3, s3, 0xba2e8ba3
	s_lshr_b32 s3, s3, 3
	s_add_i32 s8, s3, 1
	s_mul_i32 s9, s8, s14
	v_cvt_f32_u32_e32 v2, s9
	v_cvt_f32_u32_e32 v1, s8
	s_sub_i32 s20, 0, s9
	s_load_dwordx2 s[14:15], s[0:1], 0x20
	s_load_dwordx4 s[16:19], s[10:11], 0x0
	v_rcp_iflag_f32_e32 v2, v2
	v_rcp_iflag_f32_e32 v1, v1
	s_load_dword s13, s[10:11], 0x10
	v_mul_f32_e32 v2, 0x4f7ffffe, v2
	v_cvt_u32_f32_e32 v2, v2
	v_mul_f32_e32 v1, 0x4f7ffffe, v1
	v_cvt_u32_f32_e32 v1, v1
	v_readfirstlane_b32 s22, v2
	s_mul_i32 s20, s20, s22
	s_mul_hi_u32 s20, s22, s20
	s_add_i32 s22, s22, s20
	s_mul_hi_u32 s20, s2, s22
	s_mul_i32 s22, s20, s9
	s_sub_i32 s22, s2, s22
	s_add_i32 s23, s20, 1
	s_sub_i32 s24, s22, s9
	s_cmp_ge_u32 s22, s9
	s_cselect_b32 s20, s23, s20
	s_cselect_b32 s22, s24, s22
	s_add_i32 s23, s20, 1
	s_cmp_ge_u32 s22, s9
	v_readfirstlane_b32 s21, v1
	s_cselect_b32 s30, s23, s20
	s_not_b32 s3, s3
	s_mul_i32 s3, s3, s21
	s_mul_i32 s9, s30, s9
	s_mul_hi_u32 s3, s21, s3
	s_sub_i32 s9, s2, s9
	s_add_i32 s21, s21, s3
	s_mul_hi_u32 s3, s9, s21
	s_mul_i32 s20, s3, s8
	s_sub_i32 s9, s9, s20
	s_add_i32 s22, s3, 1
	s_sub_i32 s20, s9, s8
	s_cmp_ge_u32 s9, s8
	s_cselect_b32 s3, s22, s3
	s_cselect_b32 s9, s20, s9
	s_add_i32 s20, s3, 1
	s_cmp_ge_u32 s9, s8
	s_cselect_b32 s31, s20, s3
	s_mul_hi_u32 s3, s2, s21
	s_mul_i32 s3, s3, s8
	s_sub_i32 s3, s2, s3
	s_sub_i32 s9, s3, s8
	s_cmp_ge_u32 s3, s8
	s_cselect_b32 s3, s9, s3
	s_sub_i32 s9, s3, s8
	s_cmp_ge_u32 s3, s8
	s_cselect_b32 s3, s9, s3
	s_waitcnt lgkmcnt(0)
	s_mul_i32 s8, s31, s13
	s_mul_i32 s13, s3, 11
	;; [unrolled: 1-line block ×3, first 2 shown]
	s_add_i32 s28, s9, s8
	s_lshl_b64 s[20:21], s[6:7], 3
	s_add_u32 s22, s10, s20
	s_addc_u32 s23, s11, s21
	s_load_dwordx2 s[26:27], s[22:23], 0x0
	s_load_dwordx2 s[24:25], s[0:1], 0x58
	s_load_dwordx4 s[8:11], s[14:15], 0x0
	s_load_dwordx2 s[6:7], s[14:15], 0x10
	v_mul_u32_u24_e32 v1, 0x21e, v0
	s_waitcnt lgkmcnt(0)
	s_mul_i32 s7, s27, s30
	s_mul_hi_u32 s11, s26, s30
	s_add_i32 s11, s11, s7
	s_mul_i32 s7, s26, s30
	s_add_u32 s28, s7, s28
	s_addc_u32 s29, s11, 0
	s_add_u32 s14, s14, s20
	s_addc_u32 s15, s15, s21
	s_load_dwordx2 s[22:23], s[14:15], 0x0
	s_add_i32 s7, s13, 11
	s_cmp_le_u32 s7, s12
	v_lshrrev_b32_e32 v2, 16, v1
	s_cselect_b64 s[20:21], -1, 0
	v_mul_lo_u16_e32 v1, 0x79, v2
	v_sub_u16_e32 v3, v0, v1
	s_mov_b64 s[26:27], -1
	s_and_b64 vcc, exec, s[20:21]
	s_cbranch_vccz .LBB0_2
; %bb.1:
	v_mad_u64_u32 v[4:5], s[14:15], s16, v3, 0
	v_mov_b32_e32 v6, v5
	v_mad_u64_u32 v[6:7], s[14:15], s17, v3, v[6:7]
	s_lshl_b64 s[14:15], s[28:29], 2
	s_add_u32 s14, s24, s14
	v_mov_b32_e32 v5, v6
	s_addc_u32 s15, s25, s15
	v_mul_lo_u32 v6, s18, v2
	v_mov_b32_e32 v7, 0
	v_lshl_add_u64 v[4:5], v[4:5], 2, s[14:15]
	v_lshl_add_u64 v[8:9], v[6:7], 2, v[4:5]
	v_add_u32_e32 v6, s18, v6
	v_lshl_add_u64 v[10:11], v[6:7], 2, v[4:5]
	v_add_u32_e32 v6, s18, v6
	;; [unrolled: 2-line block ×8, first 2 shown]
	global_load_dword v1, v[8:9], off
	global_load_dword v24, v[10:11], off
	;; [unrolled: 1-line block ×8, first 2 shown]
	v_lshl_add_u64 v[8:9], v[6:7], 2, v[4:5]
	v_add_u32_e32 v6, s18, v6
	v_lshl_add_u64 v[10:11], v[6:7], 2, v[4:5]
	v_add_u32_e32 v6, s18, v6
	v_lshl_add_u64 v[4:5], v[6:7], 2, v[4:5]
	global_load_dword v6, v[8:9], off
	global_load_dword v7, v[10:11], off
	;; [unrolled: 1-line block ×3, first 2 shown]
	v_mul_u32_u24_e32 v4, 0x1e8, v2
	v_lshlrev_b32_e32 v5, 2, v3
	v_add3_u32 v4, 0, v4, v5
	v_add_u32_e32 v5, 0x200, v4
	v_add_u32_e32 v8, 0x600, v4
	;; [unrolled: 1-line block ×4, first 2 shown]
	s_mov_b64 s[26:27], 0
	s_waitcnt vmcnt(9)
	ds_write2_b32 v4, v1, v24 offset1:122
	s_waitcnt vmcnt(7)
	ds_write2_b32 v5, v25, v26 offset0:116 offset1:238
	s_waitcnt vmcnt(5)
	ds_write2_b32 v8, v27, v28 offset0:104 offset1:226
	s_waitcnt vmcnt(3)
	ds_write2_b32 v9, v29, v30 offset0:92 offset1:214
	s_waitcnt vmcnt(1)
	ds_write2_b32 v10, v6, v7 offset0:80 offset1:202
	s_waitcnt vmcnt(0)
	ds_write_b32 v4, v12 offset:4880
.LBB0_2:
	s_load_dwordx2 s[14:15], s[0:1], 0x60
	s_andn2_b64 vcc, exec, s[26:27]
	s_cbranch_vccnz .LBB0_14
; %bb.3:
	v_add_u32_e32 v1, s13, v2
	v_cmp_gt_u32_e32 vcc, s12, v1
	s_and_saveexec_b64 s[26:27], vcc
	s_cbranch_execz .LBB0_13
; %bb.4:
	v_mad_u64_u32 v[4:5], s[0:1], s16, v3, 0
	v_mov_b32_e32 v6, v5
	v_mad_u64_u32 v[6:7], s[0:1], s17, v3, v[6:7]
	s_lshl_b64 s[0:1], s[28:29], 2
	s_add_u32 s0, s24, s0
	v_mov_b32_e32 v5, v6
	s_addc_u32 s1, s25, s1
	v_lshl_add_u64 v[4:5], v[4:5], 2, s[0:1]
	s_sub_i32 s0, s2, s3
	s_mul_i32 s3, s0, 11
	s_add_i32 s3, s3, s12
	v_sub_u32_e32 v6, s3, v2
	v_mad_u64_u32 v[6:7], s[0:1], s2, -11, v[6:7]
	v_cmp_gt_u32_e32 vcc, 12, v6
	v_cmp_lt_u32_e64 s[0:1], 11, v6
	v_mov_b32_e32 v7, 0
	s_and_saveexec_b64 s[16:17], s[0:1]
	s_cbranch_execz .LBB0_10
; %bb.5:
	v_subrev_u32_e32 v8, s3, v2
	s_cmp_eq_u64 s[18:19], 1
	v_mad_u64_u32 v[8:9], s[0:1], s2, 11, v[8:9]
	s_cselect_b64 s[24:25], -1, 0
	v_cmp_ge_u32_e64 s[0:1], v8, v2
	s_and_b64 s[24:25], s[24:25], s[0:1]
	s_mov_b64 s[0:1], -1
	v_mov_b32_e32 v7, 0
	s_and_saveexec_b64 s[2:3], s[24:25]
	s_cbranch_execz .LBB0_9
; %bb.6:
	v_and_b32_e32 v7, -2, v6
	s_mov_b32 s7, 0
	v_lshl_add_u32 v8, v3, 2, 0
	v_mov_b32_e32 v1, v2
	s_mov_b32 s11, 1
	s_mov_b64 s[24:25], 0
	v_mov_b32_e32 v11, 0
	s_movk_i32 s19, 0x1e8
	v_mov_b32_e32 v9, v7
.LBB0_7:                                ; =>This Inner Loop Header: Depth=1
	v_add_u32_e32 v14, s7, v2
	v_mul_lo_u32 v10, v14, s18
	v_lshl_add_u64 v[12:13], v[10:11], 2, v[4:5]
	global_load_dwordx2 v[12:13], v[12:13], off
	v_add_u32_e32 v10, s11, v1
	v_add_u32_e32 v9, -2, v9
	v_mad_u64_u32 v[14:15], s[0:1], v14, s19, v[8:9]
	v_mad_u64_u32 v[16:17], s[0:1], v10, s19, v[8:9]
	s_add_i32 s7, s7, 2
	s_add_i32 s11, s11, 2
	v_cmp_eq_u32_e64 s[0:1], 0, v9
	s_or_b64 s[24:25], s[0:1], s[24:25]
	s_waitcnt vmcnt(0)
	ds_write_b32 v14, v12
	ds_write_b32 v16, v13
	s_andn2_b64 exec, exec, s[24:25]
	s_cbranch_execnz .LBB0_7
; %bb.8:
	s_or_b64 exec, exec, s[24:25]
	v_cmp_ne_u32_e64 s[0:1], v6, v7
	s_orn2_b64 s[0:1], s[0:1], exec
.LBB0_9:
	s_or_b64 exec, exec, s[2:3]
	s_andn2_b64 s[2:3], vcc, exec
	s_and_b64 s[0:1], s[0:1], exec
	s_or_b64 vcc, s[2:3], s[0:1]
.LBB0_10:
	s_or_b64 exec, exec, s[16:17]
	s_and_b64 exec, exec, vcc
	s_cbranch_execz .LBB0_13
; %bb.11:
	v_add_u32_e32 v6, v7, v2
	s_movk_i32 s0, 0x1e8
	v_mul_lo_u32 v1, v6, s0
	v_lshlrev_b32_e32 v2, 2, v3
	v_add3_u32 v1, v1, v2, 0
	v_mul_lo_u32 v2, v6, s18
	v_add_u32_e32 v6, s13, v6
	s_mov_b64 s[0:1], 0
	v_mov_b32_e32 v3, 0
.LBB0_12:                               ; =>This Inner Loop Header: Depth=1
	v_lshl_add_u64 v[8:9], v[2:3], 2, v[4:5]
	global_load_dword v7, v[8:9], off
	v_add_u32_e32 v6, 1, v6
	v_cmp_le_u32_e32 vcc, s12, v6
	v_add_u32_e32 v2, s18, v2
	s_or_b64 s[0:1], vcc, s[0:1]
	s_waitcnt vmcnt(0)
	ds_write_b32 v1, v7
	v_add_u32_e32 v1, 0x1e8, v1
	s_andn2_b64 exec, exec, s[0:1]
	s_cbranch_execnz .LBB0_12
.LBB0_13:
	s_or_b64 exec, exec, s[26:27]
.LBB0_14:
	s_movk_i32 s0, 0x1746
	v_mul_u32_u24_sdwa v1, v0, s0 dst_sel:DWORD dst_unused:UNUSED_PAD src0_sel:WORD_0 src1_sel:DWORD
	v_lshrrev_b32_e32 v1, 16, v1
	v_add_u32_e32 v2, s13, v1
	s_mov_b32 s0, 0xba2e8ba3
	v_mul_hi_u32 v3, v2, s0
	v_lshrrev_b32_e32 v3, 3, v3
	v_mul_lo_u32 v3, v3, 11
	s_mov_b32 s0, 0x1745d175
	v_sub_u32_e32 v2, v2, v3
	v_mul_hi_u32 v3, v0, s0
	v_mul_u32_u24_e32 v3, 11, v3
	v_mul_u32_u24_e32 v2, 0x7a, v2
	v_sub_u32_e32 v6, v0, v3
	v_lshlrev_b32_e32 v2, 2, v2
	v_lshlrev_b32_e32 v3, 2, v6
	v_add3_u32 v7, 0, v2, v3
	s_waitcnt lgkmcnt(0)
	s_barrier
	ds_read_b32 v16, v7
	v_add3_u32 v2, 0, v3, v2
	ds_read2_b32 v[4:5], v2 offset0:11 offset1:22
	ds_read2_b32 v[8:9], v2 offset0:33 offset1:44
	;; [unrolled: 1-line block ×5, first 2 shown]
	s_waitcnt lgkmcnt(4)
	v_alignbit_b32 v18, s0, v4, 16
	v_alignbit_b32 v19, s0, v5, 16
	v_pk_add_f16 v17, v4, v16 op_sel_hi:[1,0]
	v_pk_add_f16 v18, v18, v16 op_sel:[0,1] op_sel_hi:[1,0]
	v_pk_add_f16 v17, v17, v5
	v_pk_add_f16 v18, v18, v19
	s_waitcnt lgkmcnt(3)
	v_alignbit_b32 v19, s0, v8, 16
	v_pk_add_f16 v17, v17, v8
	v_pk_add_f16 v18, v18, v19
	v_alignbit_b32 v19, s0, v9, 16
	v_pk_add_f16 v17, v17, v9
	v_pk_add_f16 v18, v18, v19
	s_waitcnt lgkmcnt(2)
	v_alignbit_b32 v19, s0, v10, 16
	v_pk_add_f16 v17, v17, v10
	v_pk_add_f16 v18, v18, v19
	v_alignbit_b32 v19, s0, v11, 16
	;; [unrolled: 7-line block ×4, first 2 shown]
	v_pk_add_f16 v17, v17, v15
	v_pk_add_f16 v18, v18, v19
	s_mov_b32 s0, 0x1000504
	v_perm_b32 v17, v17, v18, s0
	v_pk_add_f16 v18, v15, v4
	v_pk_add_f16 v4, v4, v15 neg_lo:[0,1] neg_hi:[0,1]
	s_mov_b32 s17, 0xb853
	s_mov_b32 s3, 0xbb47
	;; [unrolled: 1-line block ×4, first 2 shown]
	v_mul_f16_sdwa v15, v4, s17 dst_sel:DWORD dst_unused:UNUSED_PAD src0_sel:WORD_1 src1_sel:DWORD
	s_movk_i32 s18, 0x3abb
	v_mul_f16_sdwa v22, v4, s3 dst_sel:DWORD dst_unused:UNUSED_PAD src0_sel:WORD_1 src1_sel:DWORD
	s_movk_i32 s7, 0x36a6
	v_mul_f16_sdwa v26, v4, s2 dst_sel:DWORD dst_unused:UNUSED_PAD src0_sel:WORD_1 src1_sel:DWORD
	s_mov_b32 s16, 0xb08e
	v_mul_f16_sdwa v30, v4, s25 dst_sel:DWORD dst_unused:UNUSED_PAD src0_sel:WORD_1 src1_sel:DWORD
	s_mov_b32 s26, 0xb93d
	s_mov_b32 s28, 0xbbad
	v_fma_f16 v19, v18, s18, v15
	v_mul_f16_sdwa v20, v18, s18 dst_sel:DWORD dst_unused:UNUSED_PAD src0_sel:WORD_1 src1_sel:DWORD
	s_movk_i32 s19, 0x3853
	v_fma_f16 v15, v18, s18, -v15
	v_fma_f16 v23, v18, s7, v22
	v_mul_f16_sdwa v24, v18, s7 dst_sel:DWORD dst_unused:UNUSED_PAD src0_sel:WORD_1 src1_sel:DWORD
	s_movk_i32 s11, 0x3b47
	v_fma_f16 v22, v18, s7, -v22
	;; [unrolled: 4-line block ×4, first 2 shown]
	v_pk_mul_f16 v18, v18, s28 op_sel_hi:[1,0]
	s_mov_b32 s29, 0xb482
	v_fma_f16 v21, v4, s19, v20
	v_fma_f16 v20, v4, s17, v20
	;; [unrolled: 1-line block ×8, first 2 shown]
	v_pk_fma_f16 v34, v4, s29, v18 op_sel:[0,0,1] op_sel_hi:[1,0,0]
	v_pk_fma_f16 v4, v4, s29, v18 op_sel:[0,0,1] op_sel_hi:[1,0,0] neg_lo:[1,0,0] neg_hi:[1,0,0]
	v_add_f16_e32 v19, v19, v16
	v_add_f16_sdwa v21, v21, v16 dst_sel:DWORD dst_unused:UNUSED_PAD src0_sel:DWORD src1_sel:WORD_1
	v_add_f16_e32 v15, v15, v16
	v_add_f16_sdwa v20, v20, v16 dst_sel:DWORD dst_unused:UNUSED_PAD src0_sel:DWORD src1_sel:WORD_1
	;; [unrolled: 2-line block ×8, first 2 shown]
	v_pk_add_f16 v34, v34, v16 op_sel:[0,1] op_sel_hi:[1,0]
	v_pk_add_f16 v4, v4, v16 op_sel:[0,1] op_sel_hi:[1,0]
	v_pk_add_f16 v16, v14, v5
	v_pk_add_f16 v5, v5, v14 neg_lo:[0,1] neg_hi:[0,1]
	s_movk_i32 s33, 0x3482
	v_mul_f16_sdwa v14, v5, s3 dst_sel:DWORD dst_unused:UNUSED_PAD src0_sel:WORD_1 src1_sel:DWORD
	v_fma_f16 v18, v16, s7, v14
	v_add_f16_e32 v18, v18, v19
	v_mul_f16_sdwa v19, v16, s7 dst_sel:DWORD dst_unused:UNUSED_PAD src0_sel:WORD_1 src1_sel:DWORD
	v_fma_f16 v14, v16, s7, -v14
	v_fma_f16 v35, v5, s11, v19
	v_add_f16_e32 v14, v14, v15
	v_fma_f16 v15, v5, s3, v19
	v_mul_f16_sdwa v19, v5, s25 dst_sel:DWORD dst_unused:UNUSED_PAD src0_sel:WORD_1 src1_sel:DWORD
	v_add_f16_e32 v15, v15, v20
	v_fma_f16 v20, v16, s26, v19
	v_add_f16_e32 v20, v20, v23
	v_mul_f16_sdwa v23, v16, s26 dst_sel:DWORD dst_unused:UNUSED_PAD src0_sel:WORD_1 src1_sel:DWORD
	v_fma_f16 v19, v16, s26, -v19
	v_add_f16_e32 v21, v35, v21
	v_fma_f16 v35, v5, s27, v23
	v_add_f16_e32 v19, v19, v22
	v_fma_f16 v22, v5, s25, v23
	v_mul_f16_sdwa v23, v5, s33 dst_sel:DWORD dst_unused:UNUSED_PAD src0_sel:WORD_1 src1_sel:DWORD
	v_add_f16_e32 v22, v22, v24
	v_fma_f16 v24, v16, s28, v23
	v_add_f16_e32 v24, v24, v27
	v_mul_f16_sdwa v27, v16, s28 dst_sel:DWORD dst_unused:UNUSED_PAD src0_sel:WORD_1 src1_sel:DWORD
	v_fma_f16 v23, v16, s28, -v23
	v_add_f16_e32 v25, v35, v25
	v_fma_f16 v35, v5, s29, v27
	v_add_f16_e32 v23, v23, v26
	v_fma_f16 v26, v5, s33, v27
	v_mul_f16_sdwa v27, v5, s24 dst_sel:DWORD dst_unused:UNUSED_PAD src0_sel:WORD_1 src1_sel:DWORD
	v_add_f16_e32 v26, v26, v28
	v_fma_f16 v28, v16, s16, v27
	v_add_f16_e32 v28, v28, v31
	v_mul_f16_sdwa v31, v16, s16 dst_sel:DWORD dst_unused:UNUSED_PAD src0_sel:WORD_1 src1_sel:DWORD
	v_fma_f16 v27, v16, s16, -v27
	v_pk_mul_f16 v16, v16, s18 op_sel_hi:[1,0]
	v_add_f16_e32 v29, v35, v29
	v_fma_f16 v35, v5, s2, v31
	v_add_f16_e32 v27, v27, v30
	v_fma_f16 v30, v5, s24, v31
	v_pk_fma_f16 v31, v5, s19, v16 op_sel:[0,0,1] op_sel_hi:[1,0,0]
	v_pk_fma_f16 v5, v5, s19, v16 op_sel:[0,0,1] op_sel_hi:[1,0,0] neg_lo:[1,0,0] neg_hi:[1,0,0]
	v_add_f16_e32 v30, v30, v32
	v_pk_add_f16 v4, v5, v4
	v_pk_add_f16 v5, v13, v8
	v_pk_add_f16 v8, v8, v13 neg_lo:[0,1] neg_hi:[0,1]
	v_add_f16_e32 v33, v35, v33
	v_mul_f16_sdwa v13, v8, s2 dst_sel:DWORD dst_unused:UNUSED_PAD src0_sel:WORD_1 src1_sel:DWORD
	v_fma_f16 v16, v5, s16, v13
	v_add_f16_e32 v16, v16, v18
	v_mul_f16_sdwa v18, v5, s16 dst_sel:DWORD dst_unused:UNUSED_PAD src0_sel:WORD_1 src1_sel:DWORD
	v_fma_f16 v13, v5, s16, -v13
	v_add_f16_e32 v13, v13, v14
	v_fma_f16 v14, v8, s2, v18
	v_add_f16_e32 v14, v14, v15
	v_mul_f16_sdwa v15, v8, s33 dst_sel:DWORD dst_unused:UNUSED_PAD src0_sel:WORD_1 src1_sel:DWORD
	v_fma_f16 v32, v8, s24, v18
	v_fma_f16 v18, v5, s28, v15
	v_add_f16_e32 v18, v18, v20
	v_mul_f16_sdwa v20, v5, s28 dst_sel:DWORD dst_unused:UNUSED_PAD src0_sel:WORD_1 src1_sel:DWORD
	v_fma_f16 v15, v5, s28, -v15
	v_add_f16_e32 v21, v32, v21
	v_fma_f16 v32, v8, s29, v20
	v_add_f16_e32 v15, v15, v19
	v_fma_f16 v19, v8, s33, v20
	v_mul_f16_sdwa v20, v8, s11 dst_sel:DWORD dst_unused:UNUSED_PAD src0_sel:WORD_1 src1_sel:DWORD
	v_add_f16_e32 v19, v19, v22
	v_fma_f16 v22, v5, s7, v20
	v_add_f16_e32 v22, v22, v24
	v_mul_f16_sdwa v24, v5, s7 dst_sel:DWORD dst_unused:UNUSED_PAD src0_sel:WORD_1 src1_sel:DWORD
	v_fma_f16 v20, v5, s7, -v20
	v_add_f16_e32 v25, v32, v25
	v_fma_f16 v32, v8, s3, v24
	v_add_f16_e32 v20, v20, v23
	v_fma_f16 v23, v8, s11, v24
	v_mul_f16_sdwa v24, v8, s17 dst_sel:DWORD dst_unused:UNUSED_PAD src0_sel:WORD_1 src1_sel:DWORD
	v_add_f16_e32 v23, v23, v26
	v_fma_f16 v26, v5, s18, v24
	v_add_f16_e32 v26, v26, v28
	v_mul_f16_sdwa v28, v5, s18 dst_sel:DWORD dst_unused:UNUSED_PAD src0_sel:WORD_1 src1_sel:DWORD
	v_fma_f16 v24, v5, s18, -v24
	v_pk_mul_f16 v5, v5, s26 op_sel_hi:[1,0]
	v_add_f16_e32 v29, v32, v29
	v_fma_f16 v32, v8, s19, v28
	v_add_f16_e32 v24, v24, v27
	v_fma_f16 v27, v8, s17, v28
	v_pk_fma_f16 v28, v8, s25, v5 op_sel:[0,0,1] op_sel_hi:[1,0,0]
	v_pk_fma_f16 v5, v8, s25, v5 op_sel:[0,0,1] op_sel_hi:[1,0,0] neg_lo:[1,0,0] neg_hi:[1,0,0]
	v_pk_add_f16 v8, v9, v12 neg_lo:[0,1] neg_hi:[0,1]
	v_pk_add_f16 v4, v5, v4
	v_pk_add_f16 v5, v12, v9
	v_mul_f16_sdwa v9, v8, s25 dst_sel:DWORD dst_unused:UNUSED_PAD src0_sel:WORD_1 src1_sel:DWORD
	v_fma_f16 v12, v5, s26, v9
	v_add_f16_e32 v12, v12, v16
	v_mul_f16_sdwa v16, v5, s26 dst_sel:DWORD dst_unused:UNUSED_PAD src0_sel:WORD_1 src1_sel:DWORD
	v_fma_f16 v9, v5, s26, -v9
	v_add_f16_e32 v9, v9, v13
	v_fma_f16 v13, v8, s25, v16
	v_add_f16_e32 v13, v13, v14
	v_mul_f16_sdwa v14, v8, s24 dst_sel:DWORD dst_unused:UNUSED_PAD src0_sel:WORD_1 src1_sel:DWORD
	v_add_f16_e32 v27, v27, v30
	v_fma_f16 v30, v8, s27, v16
	v_fma_f16 v16, v5, s16, v14
	v_add_f16_e32 v16, v16, v18
	v_mul_f16_sdwa v18, v5, s16 dst_sel:DWORD dst_unused:UNUSED_PAD src0_sel:WORD_1 src1_sel:DWORD
	v_fma_f16 v14, v5, s16, -v14
	v_add_f16_e32 v21, v30, v21
	v_fma_f16 v30, v8, s2, v18
	v_add_f16_e32 v14, v14, v15
	v_fma_f16 v15, v8, s24, v18
	v_mul_f16_sdwa v18, v8, s17 dst_sel:DWORD dst_unused:UNUSED_PAD src0_sel:WORD_1 src1_sel:DWORD
	v_add_f16_e32 v15, v15, v19
	v_fma_f16 v19, v5, s18, v18
	v_add_f16_e32 v19, v19, v22
	v_mul_f16_sdwa v22, v5, s18 dst_sel:DWORD dst_unused:UNUSED_PAD src0_sel:WORD_1 src1_sel:DWORD
	v_fma_f16 v18, v5, s18, -v18
	v_add_f16_e32 v25, v30, v25
	v_fma_f16 v30, v8, s19, v22
	v_add_f16_e32 v18, v18, v20
	v_fma_f16 v20, v8, s17, v22
	v_mul_f16_sdwa v22, v8, s29 dst_sel:DWORD dst_unused:UNUSED_PAD src0_sel:WORD_1 src1_sel:DWORD
	v_add_f16_e32 v20, v20, v23
	v_fma_f16 v23, v5, s28, v22
	v_add_f16_e32 v23, v23, v26
	v_mul_f16_sdwa v26, v5, s28 dst_sel:DWORD dst_unused:UNUSED_PAD src0_sel:WORD_1 src1_sel:DWORD
	v_fma_f16 v22, v5, s28, -v22
	v_pk_mul_f16 v5, v5, s7 op_sel_hi:[1,0]
	v_add_f16_e32 v29, v30, v29
	v_fma_f16 v30, v8, s33, v26
	v_add_f16_e32 v22, v22, v24
	v_fma_f16 v24, v8, s29, v26
	v_pk_fma_f16 v26, v8, s11, v5 op_sel:[0,0,1] op_sel_hi:[1,0,0]
	v_pk_fma_f16 v5, v8, s11, v5 op_sel:[0,0,1] op_sel_hi:[1,0,0] neg_lo:[1,0,0] neg_hi:[1,0,0]
	v_pk_add_f16 v8, v10, v11 neg_lo:[0,1] neg_hi:[0,1]
	v_pk_add_f16 v4, v5, v4
	v_pk_add_f16 v5, v11, v10
	v_mul_f16_sdwa v10, v8, s29 dst_sel:DWORD dst_unused:UNUSED_PAD src0_sel:WORD_1 src1_sel:DWORD
	v_fma_f16 v11, v5, s28, v10
	v_add_f16_e32 v11, v11, v12
	v_mul_f16_sdwa v12, v5, s28 dst_sel:DWORD dst_unused:UNUSED_PAD src0_sel:WORD_1 src1_sel:DWORD
	v_fma_f16 v10, v5, s28, -v10
	v_add_f16_e32 v24, v24, v27
	v_fma_f16 v27, v8, s33, v12
	v_add_f16_e32 v9, v10, v9
	v_fma_f16 v10, v8, s29, v12
	v_mul_f16_sdwa v12, v8, s19 dst_sel:DWORD dst_unused:UNUSED_PAD src0_sel:WORD_1 src1_sel:DWORD
	v_add_f16_e32 v10, v10, v13
	v_fma_f16 v13, v5, s18, v12
	v_add_f16_e32 v13, v13, v16
	v_mul_f16_sdwa v16, v5, s18 dst_sel:DWORD dst_unused:UNUSED_PAD src0_sel:WORD_1 src1_sel:DWORD
	v_fma_f16 v12, v5, s18, -v12
	v_add_f16_e32 v12, v12, v14
	v_fma_f16 v14, v8, s19, v16
	v_add_f16_e32 v14, v14, v15
	v_mul_f16_sdwa v15, v8, s25 dst_sel:DWORD dst_unused:UNUSED_PAD src0_sel:WORD_1 src1_sel:DWORD
	v_add_f16_e32 v21, v27, v21
	v_fma_f16 v27, v8, s17, v16
	v_fma_f16 v16, v5, s26, v15
	v_add_f16_e32 v16, v16, v19
	v_mul_f16_sdwa v19, v5, s26 dst_sel:DWORD dst_unused:UNUSED_PAD src0_sel:WORD_1 src1_sel:DWORD
	v_fma_f16 v15, v5, s26, -v15
	v_add_f16_e32 v25, v27, v25
	v_fma_f16 v27, v8, s27, v19
	v_add_f16_e32 v15, v15, v18
	v_fma_f16 v18, v8, s25, v19
	v_mul_f16_sdwa v19, v8, s11 dst_sel:DWORD dst_unused:UNUSED_PAD src0_sel:WORD_1 src1_sel:DWORD
	v_pk_add_f16 v31, v31, v34
	v_add_f16_e32 v18, v18, v20
	v_fma_f16 v20, v5, s7, v19
	v_add_f16_e32 v32, v32, v33
	v_pk_add_f16 v28, v28, v31
	v_add_f16_e32 v20, v20, v23
	v_mul_f16_sdwa v23, v5, s7 dst_sel:DWORD dst_unused:UNUSED_PAD src0_sel:WORD_1 src1_sel:DWORD
	v_fma_f16 v19, v5, s7, -v19
	v_pk_mul_f16 v5, v5, s16 op_sel_hi:[1,0]
	v_add_f16_e32 v30, v30, v32
	v_pk_add_f16 v26, v26, v28
	v_fma_f16 v28, v8, s3, v23
	v_add_f16_e32 v19, v19, v22
	v_fma_f16 v22, v8, s11, v23
	v_pk_fma_f16 v23, v8, s2, v5 op_sel:[0,0,1] op_sel_hi:[1,0,0]
	v_pk_fma_f16 v5, v8, s2, v5 op_sel:[0,0,1] op_sel_hi:[1,0,0] neg_lo:[1,0,0] neg_hi:[1,0,0]
	v_mad_u32_u24 v3, v6, 40, v2
	v_add_f16_e32 v27, v27, v29
	v_add_f16_e32 v28, v28, v30
	v_pk_add_f16 v4, v5, v4
	v_pack_b32_f16 v5, v13, v25
	v_pack_b32_f16 v8, v11, v21
	v_pk_add_f16 v23, v23, v26
	s_barrier
	ds_write2_b32 v3, v8, v5 offset0:1 offset1:2
	v_pack_b32_f16 v5, v20, v28
	v_pack_b32_f16 v8, v16, v27
	v_add_f16_e32 v22, v22, v24
	ds_write2_b32 v3, v8, v5 offset0:3 offset1:4
	v_alignbit_b32 v5, v23, v4, 16
	v_alignbit_b32 v4, v4, v23, 16
	ds_write2_b32 v3, v4, v5 offset0:5 offset1:6
	v_pack_b32_f16 v4, v15, v18
	v_pack_b32_f16 v5, v19, v22
	ds_write2_b32 v3, v5, v4 offset0:7 offset1:8
	v_pack_b32_f16 v4, v9, v10
	v_pack_b32_f16 v5, v12, v14
	ds_write_b32 v3, v17
	ds_write2_b32 v3, v5, v4 offset0:9 offset1:10
	v_mul_u32_u24_e32 v3, 10, v6
	v_lshlrev_b32_e32 v3, 2, v3
	s_waitcnt lgkmcnt(0)
	s_barrier
	global_load_dwordx4 v[8:11], v3, s[4:5]
	global_load_dwordx4 v[12:15], v3, s[4:5] offset:16
	global_load_dwordx2 v[4:5], v3, s[4:5] offset:32
	ds_read2_b32 v[16:17], v2 offset0:11 offset1:22
	ds_read2_b32 v[18:19], v2 offset0:33 offset1:44
	;; [unrolled: 1-line block ×5, first 2 shown]
	ds_read_b32 v3, v7
	ds_read_u16 v7, v2 offset:222
	s_waitcnt lgkmcnt(6)
	v_lshrrev_b32_e32 v31, 16, v16
	s_waitcnt lgkmcnt(4)
	v_lshrrev_b32_e32 v26, 16, v21
	;; [unrolled: 2-line block ×3, first 2 shown]
	v_lshrrev_b32_e32 v28, 16, v23
	s_waitcnt lgkmcnt(2)
	v_lshrrev_b32_e32 v29, 16, v24
	v_lshrrev_b32_e32 v30, 16, v25
	s_mul_i32 s0, s9, s13
	s_mul_hi_u32 s1, s8, s13
	s_mul_i32 s31, s31, s10
	s_add_i32 s1, s1, s0
	s_mul_i32 s0, s8, s13
	s_add_u32 s0, s0, s31
	s_mul_i32 s4, s23, s30
	s_mul_hi_u32 s5, s22, s30
	s_addc_u32 s1, s1, 0
	s_add_i32 s5, s5, s4
	s_mul_i32 s4, s22, s30
	s_add_u32 s0, s0, s4
	s_waitcnt lgkmcnt(0)
	s_barrier
	s_addc_u32 s1, s1, s5
	s_andn2_b64 vcc, exec, s[20:21]
	s_waitcnt vmcnt(2)
	v_mul_f16_sdwa v32, v8, v31 dst_sel:DWORD dst_unused:UNUSED_PAD src0_sel:WORD_1 src1_sel:DWORD
	v_fma_f16 v32, v8, v16, v32
	v_mul_f16_sdwa v16, v8, v16 dst_sel:DWORD dst_unused:UNUSED_PAD src0_sel:WORD_1 src1_sel:DWORD
	v_fma_f16 v8, v8, v31, -v16
	v_lshrrev_b32_e32 v16, 16, v17
	v_mul_f16_sdwa v31, v9, v16 dst_sel:DWORD dst_unused:UNUSED_PAD src0_sel:WORD_1 src1_sel:DWORD
	v_fma_f16 v31, v9, v17, v31
	v_mul_f16_sdwa v17, v9, v17 dst_sel:DWORD dst_unused:UNUSED_PAD src0_sel:WORD_1 src1_sel:DWORD
	v_fma_f16 v9, v9, v16, -v17
	v_lshrrev_b32_e32 v16, 16, v18
	v_mul_f16_sdwa v17, v10, v16 dst_sel:DWORD dst_unused:UNUSED_PAD src0_sel:WORD_1 src1_sel:DWORD
	v_fma_f16 v17, v10, v18, v17
	v_mul_f16_sdwa v18, v10, v18 dst_sel:DWORD dst_unused:UNUSED_PAD src0_sel:WORD_1 src1_sel:DWORD
	v_fma_f16 v10, v10, v16, -v18
	v_lshrrev_b32_e32 v16, 16, v19
	v_mul_f16_sdwa v18, v11, v16 dst_sel:DWORD dst_unused:UNUSED_PAD src0_sel:WORD_1 src1_sel:DWORD
	v_fma_f16 v18, v11, v19, v18
	v_mul_f16_sdwa v19, v11, v19 dst_sel:DWORD dst_unused:UNUSED_PAD src0_sel:WORD_1 src1_sel:DWORD
	v_fma_f16 v11, v11, v16, -v19
	s_waitcnt vmcnt(1)
	v_mul_f16_sdwa v16, v7, v12 dst_sel:DWORD dst_unused:UNUSED_PAD src0_sel:DWORD src1_sel:WORD_1
	v_mul_f16_sdwa v19, v12, v20 dst_sel:DWORD dst_unused:UNUSED_PAD src0_sel:WORD_1 src1_sel:DWORD
	v_fma_f16 v16, v12, v20, v16
	v_fma_f16 v7, v7, v12, -v19
	v_mul_f16_sdwa v12, v26, v13 dst_sel:DWORD dst_unused:UNUSED_PAD src0_sel:DWORD src1_sel:WORD_1
	v_mul_f16_sdwa v19, v21, v13 dst_sel:DWORD dst_unused:UNUSED_PAD src0_sel:DWORD src1_sel:WORD_1
	v_fma_f16 v12, v21, v13, v12
	v_fma_f16 v13, v26, v13, -v19
	v_mul_f16_sdwa v19, v27, v14 dst_sel:DWORD dst_unused:UNUSED_PAD src0_sel:DWORD src1_sel:WORD_1
	v_mul_f16_sdwa v20, v22, v14 dst_sel:DWORD dst_unused:UNUSED_PAD src0_sel:DWORD src1_sel:WORD_1
	;; [unrolled: 4-line block ×3, first 2 shown]
	v_fma_f16 v20, v23, v15, v20
	v_fma_f16 v15, v28, v15, -v21
	s_waitcnt vmcnt(0)
	v_mul_f16_sdwa v21, v29, v4 dst_sel:DWORD dst_unused:UNUSED_PAD src0_sel:DWORD src1_sel:WORD_1
	v_mul_f16_sdwa v22, v24, v4 dst_sel:DWORD dst_unused:UNUSED_PAD src0_sel:DWORD src1_sel:WORD_1
	v_fma_f16 v21, v24, v4, v21
	v_fma_f16 v4, v29, v4, -v22
	v_mul_f16_sdwa v22, v30, v5 dst_sel:DWORD dst_unused:UNUSED_PAD src0_sel:DWORD src1_sel:WORD_1
	v_mul_f16_sdwa v23, v25, v5 dst_sel:DWORD dst_unused:UNUSED_PAD src0_sel:DWORD src1_sel:WORD_1
	v_fma_f16 v22, v25, v5, v22
	v_fma_f16 v5, v30, v5, -v23
	v_add_f16_e32 v23, v32, v3
	v_add_f16_sdwa v24, v8, v3 dst_sel:DWORD dst_unused:UNUSED_PAD src0_sel:DWORD src1_sel:WORD_1
	v_add_f16_e32 v23, v23, v31
	v_add_f16_e32 v24, v24, v9
	;; [unrolled: 1-line block ×17, first 2 shown]
	v_add_f16_sdwa v24, v24, v5 dst_sel:WORD_1 dst_unused:UNUSED_PAD src0_sel:DWORD src1_sel:DWORD
	v_add_f16_e32 v25, v8, v5
	v_sub_f16_e32 v5, v8, v5
	v_or_b32_e32 v23, v24, v23
	v_add_f16_e32 v24, v32, v22
	v_sub_f16_e32 v22, v32, v22
	v_mul_f16_e32 v8, 0xb853, v5
	v_mul_f16_e32 v27, 0x3abb, v25
	;; [unrolled: 1-line block ×10, first 2 shown]
	v_fma_f16 v26, v24, s18, v8
	v_fma_f16 v28, v22, s19, v27
	v_fma_f16 v8, v24, s18, -v8
	v_fma_f16 v27, v22, s17, v27
	v_fma_f16 v30, v24, s7, v29
	v_fma_f16 v33, v22, s11, v32
	v_fma_f16 v29, v24, s7, -v29
	v_fma_f16 v32, v22, s3, v32
	;; [unrolled: 4-line block ×5, first 2 shown]
	v_add_f16_e32 v24, v9, v4
	v_sub_f16_e32 v4, v9, v4
	v_add_f16_e32 v26, v26, v3
	v_add_f16_sdwa v28, v28, v3 dst_sel:DWORD dst_unused:UNUSED_PAD src0_sel:DWORD src1_sel:WORD_1
	v_add_f16_e32 v8, v8, v3
	v_add_f16_sdwa v27, v27, v3 dst_sel:DWORD dst_unused:UNUSED_PAD src0_sel:DWORD src1_sel:WORD_1
	;; [unrolled: 2-line block ×10, first 2 shown]
	v_add_f16_e32 v22, v31, v21
	v_mul_f16_e32 v9, 0xbb47, v4
	v_fma_f16 v25, v22, s7, v9
	v_sub_f16_e32 v21, v31, v21
	v_add_f16_e32 v25, v25, v26
	v_mul_f16_e32 v26, 0x36a6, v24
	v_fma_f16 v9, v22, s7, -v9
	v_fma_f16 v31, v21, s11, v26
	v_add_f16_e32 v8, v9, v8
	v_fma_f16 v9, v21, s3, v26
	v_mul_f16_e32 v26, 0xba0c, v4
	v_add_f16_e32 v9, v9, v27
	v_fma_f16 v27, v22, s26, v26
	v_add_f16_e32 v27, v27, v30
	v_mul_f16_e32 v30, 0xb93d, v24
	v_fma_f16 v26, v22, s26, -v26
	v_add_f16_e32 v28, v31, v28
	v_fma_f16 v31, v21, s27, v30
	v_add_f16_e32 v26, v26, v29
	v_fma_f16 v29, v21, s25, v30
	v_mul_f16_e32 v30, 0x3482, v4
	v_add_f16_e32 v31, v31, v33
	v_add_f16_e32 v29, v29, v32
	v_fma_f16 v32, v22, s28, v30
	v_mul_f16_e32 v33, 0xbbad, v24
	v_fma_f16 v30, v22, s28, -v30
	v_add_f16_e32 v32, v32, v35
	v_fma_f16 v35, v21, s29, v33
	v_add_f16_e32 v30, v30, v34
	v_fma_f16 v33, v21, s33, v33
	v_mul_f16_e32 v34, 0x3beb, v4
	v_add_f16_e32 v35, v35, v37
	v_add_f16_e32 v33, v33, v36
	v_fma_f16 v36, v22, s16, v34
	v_mul_f16_e32 v37, 0xb08e, v24
	v_fma_f16 v34, v22, s16, -v34
	v_mul_f16_e32 v4, 0x3853, v4
	v_add_f16_e32 v36, v36, v39
	v_fma_f16 v39, v21, s2, v37
	v_add_f16_e32 v34, v34, v38
	v_fma_f16 v37, v21, s24, v37
	v_fma_f16 v38, v22, s18, v4
	v_mul_f16_e32 v24, 0x3abb, v24
	v_fma_f16 v4, v22, s18, -v4
	v_add_f16_e32 v37, v37, v40
	v_fma_f16 v40, v21, s17, v24
	v_add_f16_e32 v4, v4, v5
	v_fma_f16 v5, v21, s19, v24
	v_add_f16_e32 v21, v10, v15
	v_sub_f16_e32 v10, v10, v15
	v_add_f16_e32 v3, v5, v3
	v_add_f16_e32 v5, v17, v20
	v_mul_f16_e32 v15, 0xbbeb, v10
	v_sub_f16_e32 v17, v17, v20
	v_fma_f16 v20, v5, s16, v15
	v_mul_f16_e32 v22, 0xb08e, v21
	v_fma_f16 v15, v5, s16, -v15
	v_add_f16_e32 v8, v15, v8
	v_fma_f16 v15, v17, s2, v22
	v_add_f16_e32 v9, v15, v9
	v_mul_f16_e32 v15, 0x3482, v10
	v_fma_f16 v24, v17, s24, v22
	v_fma_f16 v22, v5, s28, v15
	v_fma_f16 v15, v5, s28, -v15
	v_add_f16_e32 v20, v20, v25
	v_mul_f16_e32 v25, 0xbbad, v21
	v_add_f16_e32 v15, v15, v26
	v_mul_f16_e32 v26, 0x3b47, v10
	v_add_f16_e32 v24, v24, v28
	v_add_f16_e32 v22, v22, v27
	v_fma_f16 v27, v17, s29, v25
	v_fma_f16 v25, v17, s33, v25
	;; [unrolled: 1-line block ×3, first 2 shown]
	v_fma_f16 v26, v5, s7, -v26
	v_add_f16_e32 v25, v25, v29
	v_mul_f16_e32 v29, 0x36a6, v21
	v_add_f16_e32 v26, v26, v30
	v_mul_f16_e32 v30, 0xb853, v10
	v_add_f16_e32 v27, v27, v31
	v_add_f16_e32 v28, v28, v32
	v_fma_f16 v31, v17, s3, v29
	v_fma_f16 v29, v17, s11, v29
	;; [unrolled: 1-line block ×3, first 2 shown]
	v_fma_f16 v30, v5, s18, -v30
	v_mul_f16_e32 v10, 0xba0c, v10
	v_add_f16_e32 v29, v29, v33
	v_mul_f16_e32 v33, 0x3abb, v21
	v_add_f16_e32 v30, v30, v34
	v_fma_f16 v34, v5, s26, v10
	v_mul_f16_e32 v21, 0xb93d, v21
	v_fma_f16 v5, v5, s26, -v10
	v_add_f16_e32 v4, v5, v4
	v_fma_f16 v5, v17, s25, v21
	v_add_f16_e32 v10, v11, v14
	v_sub_f16_e32 v11, v11, v14
	v_add_f16_e32 v3, v5, v3
	v_add_f16_e32 v5, v18, v19
	v_mul_f16_e32 v14, 0xba0c, v11
	v_add_f16_e32 v31, v31, v35
	v_add_f16_e32 v32, v32, v36
	v_fma_f16 v35, v17, s19, v33
	v_fma_f16 v33, v17, s17, v33
	;; [unrolled: 1-line block ×3, first 2 shown]
	v_sub_f16_e32 v17, v18, v19
	v_fma_f16 v18, v5, s26, v14
	v_mul_f16_e32 v19, 0xb93d, v10
	v_fma_f16 v14, v5, s26, -v14
	v_add_f16_e32 v8, v14, v8
	v_fma_f16 v14, v17, s25, v19
	v_add_f16_e32 v9, v14, v9
	v_mul_f16_e32 v14, 0x3beb, v11
	v_add_f16_e32 v18, v18, v20
	v_fma_f16 v20, v17, s27, v19
	v_fma_f16 v19, v5, s16, v14
	v_mul_f16_e32 v21, 0xb08e, v10
	v_fma_f16 v14, v5, s16, -v14
	v_add_f16_e32 v19, v19, v22
	v_fma_f16 v22, v17, s2, v21
	v_add_f16_e32 v14, v14, v15
	v_fma_f16 v15, v17, s24, v21
	v_mul_f16_e32 v21, 0xb853, v11
	v_add_f16_e32 v20, v20, v24
	v_fma_f16 v24, v5, s18, v21
	v_fma_f16 v21, v5, s18, -v21
	v_add_f16_e32 v15, v15, v25
	v_mul_f16_e32 v25, 0x3abb, v10
	v_add_f16_e32 v21, v21, v26
	v_mul_f16_e32 v26, 0xb482, v11
	v_add_f16_e32 v22, v22, v27
	v_add_f16_e32 v24, v24, v28
	v_fma_f16 v27, v17, s19, v25
	v_fma_f16 v25, v17, s17, v25
	;; [unrolled: 1-line block ×3, first 2 shown]
	v_fma_f16 v26, v5, s28, -v26
	v_mul_f16_e32 v11, 0x3b47, v11
	v_add_f16_e32 v25, v25, v29
	v_mul_f16_e32 v29, 0xbbad, v10
	v_add_f16_e32 v26, v26, v30
	v_fma_f16 v30, v5, s7, v11
	v_mul_f16_e32 v10, 0x36a6, v10
	v_fma_f16 v5, v5, s7, -v11
	v_add_f16_e32 v28, v28, v32
	v_fma_f16 v32, v17, s3, v10
	v_add_f16_e32 v4, v5, v4
	v_fma_f16 v5, v17, s11, v10
	v_add_f16_e32 v10, v7, v13
	v_sub_f16_e32 v7, v7, v13
	v_add_f16_e32 v3, v5, v3
	v_add_f16_e32 v5, v16, v12
	v_sub_f16_e32 v11, v16, v12
	v_mul_f16_e32 v12, 0xb482, v7
	v_fma_f16 v13, v5, s28, v12
	v_mul_f16_e32 v16, 0xbbad, v10
	v_fma_f16 v12, v5, s28, -v12
	v_add_f16_e32 v8, v12, v8
	v_fma_f16 v12, v11, s29, v16
	v_add_f16_e32 v9, v12, v9
	v_mul_f16_e32 v12, 0x3853, v7
	v_add_f16_e32 v27, v27, v31
	v_fma_f16 v31, v17, s33, v29
	v_fma_f16 v29, v17, s29, v29
	v_add_f16_e32 v13, v13, v18
	v_fma_f16 v17, v11, s33, v16
	v_fma_f16 v16, v5, s18, v12
	v_mul_f16_e32 v18, 0x3abb, v10
	v_fma_f16 v12, v5, s18, -v12
	v_add_f16_e32 v12, v12, v14
	v_fma_f16 v14, v11, s19, v18
	v_add_f16_e32 v14, v14, v15
	v_mul_f16_e32 v15, 0xba0c, v7
	v_add_f16_e32 v16, v16, v19
	v_fma_f16 v19, v11, s17, v18
	v_fma_f16 v18, v5, s26, v15
	v_fma_f16 v15, v5, s26, -v15
	v_add_f16_e32 v17, v17, v20
	v_mul_f16_e32 v20, 0xb93d, v10
	v_add_f16_e32 v15, v15, v21
	v_mul_f16_e32 v21, 0x3b47, v7
	v_add_f16_e32 v19, v19, v22
	v_add_f16_e32 v18, v18, v24
	v_fma_f16 v22, v11, s27, v20
	v_fma_f16 v20, v11, s25, v20
	;; [unrolled: 1-line block ×3, first 2 shown]
	v_fma_f16 v21, v5, s7, -v21
	v_mul_f16_e32 v7, 0xbbeb, v7
	v_add_f16_e32 v33, v33, v37
	v_add_f16_e32 v20, v20, v25
	v_mul_f16_e32 v25, 0x36a6, v10
	v_add_f16_e32 v21, v21, v26
	v_fma_f16 v26, v5, s16, v7
	v_mul_f16_e32 v10, 0xb08e, v10
	v_fma_f16 v5, v5, s16, -v7
	v_add_f16_e32 v39, v39, v41
	v_add_f16_e32 v38, v38, v42
	;; [unrolled: 1-line block ×5, first 2 shown]
	v_fma_f16 v27, v11, s3, v25
	v_fma_f16 v25, v11, s11, v25
	v_add_f16_e32 v4, v5, v4
	v_fma_f16 v5, v11, s2, v10
	v_add_f16_e32 v35, v35, v39
	v_add_f16_e32 v34, v34, v38
	v_add_f16_e32 v36, v36, v40
	v_add_f16_e32 v25, v25, v29
	v_add_f16_e32 v3, v5, v3
	v_add_f16_e32 v31, v31, v35
	v_add_f16_e32 v30, v30, v34
	v_add_f16_e32 v32, v32, v36
	v_add_f16_e32 v24, v24, v28
	v_fma_f16 v28, v11, s24, v10
	v_pack_b32_f16 v5, v13, v17
	v_pack_b32_f16 v3, v4, v3
	;; [unrolled: 1-line block ×3, first 2 shown]
	v_add_f16_e32 v27, v27, v31
	v_add_f16_e32 v26, v26, v30
	;; [unrolled: 1-line block ×3, first 2 shown]
	ds_write2_b32 v2, v23, v5 offset1:11
	v_pack_b32_f16 v5, v16, v19
	v_pack_b32_f16 v7, v18, v22
	ds_write2_b32 v2, v3, v4 offset0:66 offset1:77
	v_pack_b32_f16 v3, v15, v20
	v_pack_b32_f16 v4, v12, v14
	ds_write2_b32 v2, v5, v7 offset0:22 offset1:33
	;; [unrolled: 3-line block ×3, first 2 shown]
	v_pack_b32_f16 v3, v8, v9
	s_mov_b64 s[2:3], -1
	ds_write2_b32 v2, v5, v7 offset0:44 offset1:55
	ds_write_b32 v2, v3 offset:440
	s_waitcnt lgkmcnt(0)
	s_barrier
	s_cbranch_vccnz .LBB0_18
; %bb.15:
	v_mad_u64_u32 v[4:5], s[2:3], s8, v6, 0
	v_mov_b32_e32 v2, v5
	v_mul_u32_u24_e32 v7, 0x1e8, v6
	v_lshlrev_b32_e32 v8, 2, v1
	v_mad_u64_u32 v[2:3], s[2:3], s9, v6, v[2:3]
	v_add3_u32 v7, 0, v7, v8
	s_lshl_b64 s[2:3], s[0:1], 2
	ds_read2_b32 v[8:9], v7 offset1:11
	s_add_u32 s2, s14, s2
	v_mov_b32_e32 v5, v2
	s_addc_u32 s3, s15, s3
	v_mul_lo_u32 v2, s6, v1
	v_mov_b32_e32 v3, 0
	v_lshl_add_u64 v[4:5], v[4:5], 2, s[2:3]
	v_lshl_add_u64 v[10:11], v[2:3], 2, v[4:5]
	s_waitcnt lgkmcnt(0)
	global_store_dword v[10:11], v8, off
	ds_read2_b32 v[10:11], v7 offset0:22 offset1:33
	s_mul_i32 s4, s6, 11
	v_add_u32_e32 v2, s4, v2
	v_lshl_add_u64 v[12:13], v[2:3], 2, v[4:5]
	v_add_u32_e32 v2, s4, v2
	global_store_dword v[12:13], v9, off
	v_lshl_add_u64 v[8:9], v[2:3], 2, v[4:5]
	s_waitcnt lgkmcnt(0)
	global_store_dword v[8:9], v10, off
	ds_read2_b32 v[8:9], v7 offset0:44 offset1:55
	v_add_u32_e32 v2, s4, v2
	v_lshl_add_u64 v[12:13], v[2:3], 2, v[4:5]
	v_add_u32_e32 v2, s4, v2
	global_store_dword v[12:13], v11, off
	v_lshl_add_u64 v[10:11], v[2:3], 2, v[4:5]
	s_waitcnt lgkmcnt(0)
	global_store_dword v[10:11], v8, off
	ds_read2_b32 v[10:11], v7 offset0:66 offset1:77
	v_add_u32_e32 v2, s4, v2
	v_lshl_add_u64 v[12:13], v[2:3], 2, v[4:5]
	v_add_u32_e32 v2, s4, v2
	global_store_dword v[12:13], v9, off
	v_lshl_add_u64 v[8:9], v[2:3], 2, v[4:5]
	s_waitcnt lgkmcnt(0)
	global_store_dword v[8:9], v10, off
	v_add_u32_e32 v2, s4, v2
	ds_read2_b32 v[8:9], v7 offset0:88 offset1:99
	v_lshl_add_u64 v[12:13], v[2:3], 2, v[4:5]
	global_store_dword v[12:13], v11, off
	ds_read_b32 v12, v7 offset:440
	v_add_u32_e32 v2, s4, v2
	v_lshl_add_u64 v[10:11], v[2:3], 2, v[4:5]
	v_add_u32_e32 v2, s4, v2
	s_waitcnt lgkmcnt(1)
	global_store_dword v[10:11], v8, off
	v_lshl_add_u64 v[10:11], v[2:3], 2, v[4:5]
	v_add_u32_e32 v2, s4, v2
	global_store_dword v[10:11], v9, off
	v_lshl_add_u64 v[8:9], v[2:3], 2, v[4:5]
	v_cmp_gt_u32_e32 vcc, 11, v0
	s_waitcnt lgkmcnt(0)
	global_store_dword v[8:9], v12, off
	s_and_saveexec_b64 s[2:3], vcc
	s_cbranch_execz .LBB0_17
; %bb.16:
	ds_read_b32 v7, v7 offset:484
	v_add_u32_e32 v2, s4, v2
	v_lshl_add_u64 v[2:3], v[2:3], 2, v[4:5]
	s_waitcnt lgkmcnt(0)
	global_store_dword v[2:3], v7, off
.LBB0_17:
	s_or_b64 exec, exec, s[2:3]
	s_mov_b64 s[2:3], 0
.LBB0_18:
	s_andn2_b64 vcc, exec, s[2:3]
	s_cbranch_vccnz .LBB0_22
; %bb.19:
	v_add_u32_e32 v2, s13, v6
	v_cmp_gt_u32_e32 vcc, s12, v2
	s_and_saveexec_b64 s[2:3], vcc
	s_cbranch_execz .LBB0_22
; %bb.20:
	v_mad_u64_u32 v[4:5], s[2:3], s8, v6, 0
	v_mov_b32_e32 v2, v5
	v_mad_u64_u32 v[2:3], s[2:3], s9, v6, v[2:3]
	s_movk_i32 s2, 0x1e8
	s_nop 0
	v_mad_u32_u24 v6, v6, s2, 0
	v_mov_b32_e32 v5, v2
	v_mul_lo_u32 v2, s6, v1
	v_lshl_add_u32 v1, v1, 2, v6
	s_lshl_b64 s[0:1], s[0:1], 2
	ds_read2_b32 v[8:9], v1 offset1:11
	s_add_u32 s0, s14, s0
	s_addc_u32 s1, s15, s1
	v_mov_b32_e32 v3, 0
	v_lshl_add_u64 v[4:5], v[4:5], 2, s[0:1]
	v_lshl_add_u64 v[10:11], v[2:3], 2, v[4:5]
	s_waitcnt lgkmcnt(0)
	global_store_dword v[10:11], v8, off
	ds_read2_b32 v[10:11], v1 offset0:22 offset1:33
	s_mul_i32 s0, s6, 11
	v_add_u32_e32 v2, s0, v2
	v_lshl_add_u64 v[12:13], v[2:3], 2, v[4:5]
	v_add_u32_e32 v2, s0, v2
	global_store_dword v[12:13], v9, off
	v_lshl_add_u64 v[8:9], v[2:3], 2, v[4:5]
	s_waitcnt lgkmcnt(0)
	global_store_dword v[8:9], v10, off
	ds_read2_b32 v[8:9], v1 offset0:44 offset1:55
	v_add_u32_e32 v2, s0, v2
	v_lshl_add_u64 v[12:13], v[2:3], 2, v[4:5]
	v_add_u32_e32 v2, s0, v2
	global_store_dword v[12:13], v11, off
	v_lshl_add_u64 v[10:11], v[2:3], 2, v[4:5]
	s_waitcnt lgkmcnt(0)
	global_store_dword v[10:11], v8, off
	ds_read2_b32 v[10:11], v1 offset0:66 offset1:77
	;; [unrolled: 8-line block ×3, first 2 shown]
	v_add_u32_e32 v2, s0, v2
	ds_read_b32 v1, v1 offset:440
	s_mul_hi_u32 s1, s12, 0xba2e8ba3
	v_lshl_add_u64 v[12:13], v[2:3], 2, v[4:5]
	v_add_u32_e32 v2, s0, v2
	s_lshr_b32 s1, s1, 3
	global_store_dword v[12:13], v11, off
	v_lshl_add_u64 v[10:11], v[2:3], 2, v[4:5]
	v_add_u32_e32 v2, s0, v2
	s_mul_i32 s1, s1, 11
	s_waitcnt lgkmcnt(1)
	global_store_dword v[10:11], v8, off
	v_lshl_add_u64 v[10:11], v[2:3], 2, v[4:5]
	v_add_u32_e32 v2, s0, v2
	s_sub_i32 s1, s12, s1
	global_store_dword v[10:11], v9, off
	v_lshl_add_u64 v[8:9], v[2:3], 2, v[4:5]
	v_cmp_gt_u32_e32 vcc, s1, v0
	s_waitcnt lgkmcnt(0)
	global_store_dword v[8:9], v1, off
	s_and_b64 exec, exec, vcc
	s_cbranch_execz .LBB0_22
; %bb.21:
	ds_read_b32 v6, v6 offset:484
	v_add_u32_e32 v2, s0, v2
	v_lshl_add_u64 v[0:1], v[2:3], 2, v[4:5]
	s_waitcnt lgkmcnt(0)
	global_store_dword v[0:1], v6, off
.LBB0_22:
	s_endpgm
	.section	.rodata,"a",@progbits
	.p2align	6, 0x0
	.amdhsa_kernel fft_rtc_back_len121_factors_11_11_wgs_121_tpt_11_half_op_CI_CI_sbrc_erc_z_xy_unaligned_dirReg
		.amdhsa_group_segment_fixed_size 0
		.amdhsa_private_segment_fixed_size 0
		.amdhsa_kernarg_size 104
		.amdhsa_user_sgpr_count 2
		.amdhsa_user_sgpr_dispatch_ptr 0
		.amdhsa_user_sgpr_queue_ptr 0
		.amdhsa_user_sgpr_kernarg_segment_ptr 1
		.amdhsa_user_sgpr_dispatch_id 0
		.amdhsa_user_sgpr_kernarg_preload_length 0
		.amdhsa_user_sgpr_kernarg_preload_offset 0
		.amdhsa_user_sgpr_private_segment_size 0
		.amdhsa_uses_dynamic_stack 0
		.amdhsa_enable_private_segment 0
		.amdhsa_system_sgpr_workgroup_id_x 1
		.amdhsa_system_sgpr_workgroup_id_y 0
		.amdhsa_system_sgpr_workgroup_id_z 0
		.amdhsa_system_sgpr_workgroup_info 0
		.amdhsa_system_vgpr_workitem_id 0
		.amdhsa_next_free_vgpr 44
		.amdhsa_next_free_sgpr 34
		.amdhsa_accum_offset 44
		.amdhsa_reserve_vcc 1
		.amdhsa_float_round_mode_32 0
		.amdhsa_float_round_mode_16_64 0
		.amdhsa_float_denorm_mode_32 3
		.amdhsa_float_denorm_mode_16_64 3
		.amdhsa_dx10_clamp 1
		.amdhsa_ieee_mode 1
		.amdhsa_fp16_overflow 0
		.amdhsa_tg_split 0
		.amdhsa_exception_fp_ieee_invalid_op 0
		.amdhsa_exception_fp_denorm_src 0
		.amdhsa_exception_fp_ieee_div_zero 0
		.amdhsa_exception_fp_ieee_overflow 0
		.amdhsa_exception_fp_ieee_underflow 0
		.amdhsa_exception_fp_ieee_inexact 0
		.amdhsa_exception_int_div_zero 0
	.end_amdhsa_kernel
	.text
.Lfunc_end0:
	.size	fft_rtc_back_len121_factors_11_11_wgs_121_tpt_11_half_op_CI_CI_sbrc_erc_z_xy_unaligned_dirReg, .Lfunc_end0-fft_rtc_back_len121_factors_11_11_wgs_121_tpt_11_half_op_CI_CI_sbrc_erc_z_xy_unaligned_dirReg
                                        ; -- End function
	.section	.AMDGPU.csdata,"",@progbits
; Kernel info:
; codeLenInByte = 6956
; NumSgprs: 40
; NumVgprs: 44
; NumAgprs: 0
; TotalNumVgprs: 44
; ScratchSize: 0
; MemoryBound: 0
; FloatMode: 240
; IeeeMode: 1
; LDSByteSize: 0 bytes/workgroup (compile time only)
; SGPRBlocks: 4
; VGPRBlocks: 5
; NumSGPRsForWavesPerEU: 40
; NumVGPRsForWavesPerEU: 44
; AccumOffset: 44
; Occupancy: 8
; WaveLimiterHint : 1
; COMPUTE_PGM_RSRC2:SCRATCH_EN: 0
; COMPUTE_PGM_RSRC2:USER_SGPR: 2
; COMPUTE_PGM_RSRC2:TRAP_HANDLER: 0
; COMPUTE_PGM_RSRC2:TGID_X_EN: 1
; COMPUTE_PGM_RSRC2:TGID_Y_EN: 0
; COMPUTE_PGM_RSRC2:TGID_Z_EN: 0
; COMPUTE_PGM_RSRC2:TIDIG_COMP_CNT: 0
; COMPUTE_PGM_RSRC3_GFX90A:ACCUM_OFFSET: 10
; COMPUTE_PGM_RSRC3_GFX90A:TG_SPLIT: 0
	.text
	.p2alignl 6, 3212836864
	.fill 256, 4, 3212836864
	.type	__hip_cuid_e9bf791624d681a0,@object ; @__hip_cuid_e9bf791624d681a0
	.section	.bss,"aw",@nobits
	.globl	__hip_cuid_e9bf791624d681a0
__hip_cuid_e9bf791624d681a0:
	.byte	0                               ; 0x0
	.size	__hip_cuid_e9bf791624d681a0, 1

	.ident	"AMD clang version 19.0.0git (https://github.com/RadeonOpenCompute/llvm-project roc-6.4.0 25133 c7fe45cf4b819c5991fe208aaa96edf142730f1d)"
	.section	".note.GNU-stack","",@progbits
	.addrsig
	.addrsig_sym __hip_cuid_e9bf791624d681a0
	.amdgpu_metadata
---
amdhsa.kernels:
  - .agpr_count:     0
    .args:
      - .actual_access:  read_only
        .address_space:  global
        .offset:         0
        .size:           8
        .value_kind:     global_buffer
      - .offset:         8
        .size:           8
        .value_kind:     by_value
      - .actual_access:  read_only
        .address_space:  global
        .offset:         16
        .size:           8
        .value_kind:     global_buffer
      - .actual_access:  read_only
        .address_space:  global
        .offset:         24
        .size:           8
        .value_kind:     global_buffer
      - .actual_access:  read_only
        .address_space:  global
        .offset:         32
        .size:           8
        .value_kind:     global_buffer
      - .offset:         40
        .size:           8
        .value_kind:     by_value
      - .actual_access:  read_only
        .address_space:  global
        .offset:         48
        .size:           8
        .value_kind:     global_buffer
      - .actual_access:  read_only
        .address_space:  global
        .offset:         56
        .size:           8
        .value_kind:     global_buffer
      - .offset:         64
        .size:           4
        .value_kind:     by_value
      - .actual_access:  read_only
        .address_space:  global
        .offset:         72
        .size:           8
        .value_kind:     global_buffer
      - .actual_access:  read_only
        .address_space:  global
        .offset:         80
        .size:           8
        .value_kind:     global_buffer
      - .actual_access:  read_only
        .address_space:  global
        .offset:         88
        .size:           8
        .value_kind:     global_buffer
      - .actual_access:  write_only
        .address_space:  global
        .offset:         96
        .size:           8
        .value_kind:     global_buffer
    .group_segment_fixed_size: 0
    .kernarg_segment_align: 8
    .kernarg_segment_size: 104
    .language:       OpenCL C
    .language_version:
      - 2
      - 0
    .max_flat_workgroup_size: 121
    .name:           fft_rtc_back_len121_factors_11_11_wgs_121_tpt_11_half_op_CI_CI_sbrc_erc_z_xy_unaligned_dirReg
    .private_segment_fixed_size: 0
    .sgpr_count:     40
    .sgpr_spill_count: 0
    .symbol:         fft_rtc_back_len121_factors_11_11_wgs_121_tpt_11_half_op_CI_CI_sbrc_erc_z_xy_unaligned_dirReg.kd
    .uniform_work_group_size: 1
    .uses_dynamic_stack: false
    .vgpr_count:     44
    .vgpr_spill_count: 0
    .wavefront_size: 64
amdhsa.target:   amdgcn-amd-amdhsa--gfx950
amdhsa.version:
  - 1
  - 2
...

	.end_amdgpu_metadata
